;; amdgpu-corpus repo=ROCm/rocFFT kind=compiled arch=gfx906 opt=O3
	.text
	.amdgcn_target "amdgcn-amd-amdhsa--gfx906"
	.amdhsa_code_object_version 6
	.protected	fft_rtc_fwd_len1053_factors_3_3_13_3_3_wgs_117_tpt_117_halfLds_dp_ip_CI_sbrr_dirReg ; -- Begin function fft_rtc_fwd_len1053_factors_3_3_13_3_3_wgs_117_tpt_117_halfLds_dp_ip_CI_sbrr_dirReg
	.globl	fft_rtc_fwd_len1053_factors_3_3_13_3_3_wgs_117_tpt_117_halfLds_dp_ip_CI_sbrr_dirReg
	.p2align	8
	.type	fft_rtc_fwd_len1053_factors_3_3_13_3_3_wgs_117_tpt_117_halfLds_dp_ip_CI_sbrr_dirReg,@function
fft_rtc_fwd_len1053_factors_3_3_13_3_3_wgs_117_tpt_117_halfLds_dp_ip_CI_sbrr_dirReg: ; @fft_rtc_fwd_len1053_factors_3_3_13_3_3_wgs_117_tpt_117_halfLds_dp_ip_CI_sbrr_dirReg
; %bb.0:
	s_load_dwordx2 s[14:15], s[4:5], 0x18
	s_load_dwordx4 s[8:11], s[4:5], 0x0
	s_load_dwordx2 s[12:13], s[4:5], 0x50
	v_mul_u32_u24_e32 v1, 0x231, v0
	v_add_u32_sdwa v5, s6, v1 dst_sel:DWORD dst_unused:UNUSED_PAD src0_sel:DWORD src1_sel:WORD_1
	s_waitcnt lgkmcnt(0)
	s_load_dwordx2 s[2:3], s[14:15], 0x0
	v_cmp_lt_u64_e64 s[0:1], s[10:11], 2
	v_mov_b32_e32 v3, 0
	v_mov_b32_e32 v1, 0
	;; [unrolled: 1-line block ×3, first 2 shown]
	s_and_b64 vcc, exec, s[0:1]
	v_mov_b32_e32 v2, 0
	s_cbranch_vccnz .LBB0_8
; %bb.1:
	s_load_dwordx2 s[0:1], s[4:5], 0x10
	s_add_u32 s6, s14, 8
	s_addc_u32 s7, s15, 0
	v_mov_b32_e32 v1, 0
	v_mov_b32_e32 v2, 0
	s_waitcnt lgkmcnt(0)
	s_add_u32 s16, s0, 8
	s_addc_u32 s17, s1, 0
	s_mov_b64 s[18:19], 1
.LBB0_2:                                ; =>This Inner Loop Header: Depth=1
	s_load_dwordx2 s[20:21], s[16:17], 0x0
                                        ; implicit-def: $vgpr7_vgpr8
	s_waitcnt lgkmcnt(0)
	v_or_b32_e32 v4, s21, v6
	v_cmp_ne_u64_e32 vcc, 0, v[3:4]
	s_and_saveexec_b64 s[0:1], vcc
	s_xor_b64 s[22:23], exec, s[0:1]
	s_cbranch_execz .LBB0_4
; %bb.3:                                ;   in Loop: Header=BB0_2 Depth=1
	v_cvt_f32_u32_e32 v4, s20
	v_cvt_f32_u32_e32 v7, s21
	s_sub_u32 s0, 0, s20
	s_subb_u32 s1, 0, s21
	v_mac_f32_e32 v4, 0x4f800000, v7
	v_rcp_f32_e32 v4, v4
	v_mul_f32_e32 v4, 0x5f7ffffc, v4
	v_mul_f32_e32 v7, 0x2f800000, v4
	v_trunc_f32_e32 v7, v7
	v_mac_f32_e32 v4, 0xcf800000, v7
	v_cvt_u32_f32_e32 v7, v7
	v_cvt_u32_f32_e32 v4, v4
	v_mul_lo_u32 v8, s0, v7
	v_mul_hi_u32 v9, s0, v4
	v_mul_lo_u32 v11, s1, v4
	v_mul_lo_u32 v10, s0, v4
	v_add_u32_e32 v8, v9, v8
	v_add_u32_e32 v8, v8, v11
	v_mul_hi_u32 v9, v4, v10
	v_mul_lo_u32 v11, v4, v8
	v_mul_hi_u32 v13, v4, v8
	v_mul_hi_u32 v12, v7, v10
	v_mul_lo_u32 v10, v7, v10
	v_mul_hi_u32 v14, v7, v8
	v_add_co_u32_e32 v9, vcc, v9, v11
	v_addc_co_u32_e32 v11, vcc, 0, v13, vcc
	v_mul_lo_u32 v8, v7, v8
	v_add_co_u32_e32 v9, vcc, v9, v10
	v_addc_co_u32_e32 v9, vcc, v11, v12, vcc
	v_addc_co_u32_e32 v10, vcc, 0, v14, vcc
	v_add_co_u32_e32 v8, vcc, v9, v8
	v_addc_co_u32_e32 v9, vcc, 0, v10, vcc
	v_add_co_u32_e32 v4, vcc, v4, v8
	v_addc_co_u32_e32 v7, vcc, v7, v9, vcc
	v_mul_lo_u32 v8, s0, v7
	v_mul_hi_u32 v9, s0, v4
	v_mul_lo_u32 v10, s1, v4
	v_mul_lo_u32 v11, s0, v4
	v_add_u32_e32 v8, v9, v8
	v_add_u32_e32 v8, v8, v10
	v_mul_lo_u32 v12, v4, v8
	v_mul_hi_u32 v13, v4, v11
	v_mul_hi_u32 v14, v4, v8
	;; [unrolled: 1-line block ×3, first 2 shown]
	v_mul_lo_u32 v11, v7, v11
	v_mul_hi_u32 v9, v7, v8
	v_add_co_u32_e32 v12, vcc, v13, v12
	v_addc_co_u32_e32 v13, vcc, 0, v14, vcc
	v_mul_lo_u32 v8, v7, v8
	v_add_co_u32_e32 v11, vcc, v12, v11
	v_addc_co_u32_e32 v10, vcc, v13, v10, vcc
	v_addc_co_u32_e32 v9, vcc, 0, v9, vcc
	v_add_co_u32_e32 v8, vcc, v10, v8
	v_addc_co_u32_e32 v9, vcc, 0, v9, vcc
	v_add_co_u32_e32 v4, vcc, v4, v8
	v_addc_co_u32_e32 v9, vcc, v7, v9, vcc
	v_mad_u64_u32 v[7:8], s[0:1], v5, v9, 0
	v_mul_hi_u32 v10, v5, v4
	v_add_co_u32_e32 v11, vcc, v10, v7
	v_addc_co_u32_e32 v12, vcc, 0, v8, vcc
	v_mad_u64_u32 v[7:8], s[0:1], v6, v4, 0
	v_mad_u64_u32 v[9:10], s[0:1], v6, v9, 0
	v_add_co_u32_e32 v4, vcc, v11, v7
	v_addc_co_u32_e32 v4, vcc, v12, v8, vcc
	v_addc_co_u32_e32 v7, vcc, 0, v10, vcc
	v_add_co_u32_e32 v4, vcc, v4, v9
	v_addc_co_u32_e32 v9, vcc, 0, v7, vcc
	v_mul_lo_u32 v10, s21, v4
	v_mul_lo_u32 v11, s20, v9
	v_mad_u64_u32 v[7:8], s[0:1], s20, v4, 0
	v_add3_u32 v8, v8, v11, v10
	v_sub_u32_e32 v10, v6, v8
	v_mov_b32_e32 v11, s21
	v_sub_co_u32_e32 v7, vcc, v5, v7
	v_subb_co_u32_e64 v10, s[0:1], v10, v11, vcc
	v_subrev_co_u32_e64 v11, s[0:1], s20, v7
	v_subbrev_co_u32_e64 v10, s[0:1], 0, v10, s[0:1]
	v_cmp_le_u32_e64 s[0:1], s21, v10
	v_cndmask_b32_e64 v12, 0, -1, s[0:1]
	v_cmp_le_u32_e64 s[0:1], s20, v11
	v_cndmask_b32_e64 v11, 0, -1, s[0:1]
	v_cmp_eq_u32_e64 s[0:1], s21, v10
	v_cndmask_b32_e64 v10, v12, v11, s[0:1]
	v_add_co_u32_e64 v11, s[0:1], 2, v4
	v_addc_co_u32_e64 v12, s[0:1], 0, v9, s[0:1]
	v_add_co_u32_e64 v13, s[0:1], 1, v4
	v_addc_co_u32_e64 v14, s[0:1], 0, v9, s[0:1]
	v_subb_co_u32_e32 v8, vcc, v6, v8, vcc
	v_cmp_ne_u32_e64 s[0:1], 0, v10
	v_cmp_le_u32_e32 vcc, s21, v8
	v_cndmask_b32_e64 v10, v14, v12, s[0:1]
	v_cndmask_b32_e64 v12, 0, -1, vcc
	v_cmp_le_u32_e32 vcc, s20, v7
	v_cndmask_b32_e64 v7, 0, -1, vcc
	v_cmp_eq_u32_e32 vcc, s21, v8
	v_cndmask_b32_e32 v7, v12, v7, vcc
	v_cmp_ne_u32_e32 vcc, 0, v7
	v_cndmask_b32_e64 v7, v13, v11, s[0:1]
	v_cndmask_b32_e32 v8, v9, v10, vcc
	v_cndmask_b32_e32 v7, v4, v7, vcc
.LBB0_4:                                ;   in Loop: Header=BB0_2 Depth=1
	s_andn2_saveexec_b64 s[0:1], s[22:23]
	s_cbranch_execz .LBB0_6
; %bb.5:                                ;   in Loop: Header=BB0_2 Depth=1
	v_cvt_f32_u32_e32 v4, s20
	s_sub_i32 s22, 0, s20
	v_rcp_iflag_f32_e32 v4, v4
	v_mul_f32_e32 v4, 0x4f7ffffe, v4
	v_cvt_u32_f32_e32 v4, v4
	v_mul_lo_u32 v7, s22, v4
	v_mul_hi_u32 v7, v4, v7
	v_add_u32_e32 v4, v4, v7
	v_mul_hi_u32 v4, v5, v4
	v_mul_lo_u32 v7, v4, s20
	v_add_u32_e32 v8, 1, v4
	v_sub_u32_e32 v7, v5, v7
	v_subrev_u32_e32 v9, s20, v7
	v_cmp_le_u32_e32 vcc, s20, v7
	v_cndmask_b32_e32 v7, v7, v9, vcc
	v_cndmask_b32_e32 v4, v4, v8, vcc
	v_add_u32_e32 v8, 1, v4
	v_cmp_le_u32_e32 vcc, s20, v7
	v_cndmask_b32_e32 v7, v4, v8, vcc
	v_mov_b32_e32 v8, v3
.LBB0_6:                                ;   in Loop: Header=BB0_2 Depth=1
	s_or_b64 exec, exec, s[0:1]
	v_mul_lo_u32 v4, v8, s20
	v_mul_lo_u32 v11, v7, s21
	v_mad_u64_u32 v[9:10], s[0:1], v7, s20, 0
	s_load_dwordx2 s[0:1], s[6:7], 0x0
	s_add_u32 s18, s18, 1
	v_add3_u32 v4, v10, v11, v4
	v_sub_co_u32_e32 v5, vcc, v5, v9
	v_subb_co_u32_e32 v4, vcc, v6, v4, vcc
	s_waitcnt lgkmcnt(0)
	v_mul_lo_u32 v4, s0, v4
	v_mul_lo_u32 v6, s1, v5
	v_mad_u64_u32 v[1:2], s[0:1], s0, v5, v[1:2]
	s_addc_u32 s19, s19, 0
	s_add_u32 s6, s6, 8
	v_add3_u32 v2, v6, v2, v4
	v_mov_b32_e32 v4, s10
	v_mov_b32_e32 v5, s11
	s_addc_u32 s7, s7, 0
	v_cmp_ge_u64_e32 vcc, s[18:19], v[4:5]
	s_add_u32 s16, s16, 8
	s_addc_u32 s17, s17, 0
	s_cbranch_vccnz .LBB0_9
; %bb.7:                                ;   in Loop: Header=BB0_2 Depth=1
	v_mov_b32_e32 v5, v7
	v_mov_b32_e32 v6, v8
	s_branch .LBB0_2
.LBB0_8:
	v_mov_b32_e32 v8, v6
	v_mov_b32_e32 v7, v5
.LBB0_9:
	s_lshl_b64 s[0:1], s[10:11], 3
	s_add_u32 s0, s14, s0
	s_addc_u32 s1, s15, s1
	s_load_dwordx2 s[6:7], s[0:1], 0x0
	s_load_dwordx2 s[10:11], s[4:5], 0x20
                                        ; implicit-def: $vgpr73
                                        ; implicit-def: $vgpr74
	s_waitcnt lgkmcnt(0)
	v_mad_u64_u32 v[1:2], s[0:1], s6, v7, v[1:2]
	s_mov_b32 s0, 0x2302303
	v_mul_lo_u32 v3, s6, v8
	v_mul_lo_u32 v4, s7, v7
	v_mul_hi_u32 v5, v0, s0
	v_cmp_gt_u64_e32 vcc, s[10:11], v[7:8]
	v_cmp_le_u64_e64 s[0:1], s[10:11], v[7:8]
	v_add3_u32 v2, v4, v2, v3
	v_mul_u32_u24_e32 v3, 0x75, v5
	v_sub_u32_e32 v72, v0, v3
	s_and_saveexec_b64 s[4:5], s[0:1]
	s_xor_b64 s[0:1], exec, s[4:5]
; %bb.10:
	v_add_u32_e32 v73, 0x75, v72
	v_add_u32_e32 v74, 0xea, v72
; %bb.11:
	s_or_saveexec_b64 s[4:5], s[0:1]
	v_lshlrev_b64 v[48:49], 4, v[1:2]
                                        ; implicit-def: $vgpr10_vgpr11
                                        ; implicit-def: $vgpr6_vgpr7
                                        ; implicit-def: $vgpr2_vgpr3
                                        ; implicit-def: $vgpr18_vgpr19
                                        ; implicit-def: $vgpr22_vgpr23
                                        ; implicit-def: $vgpr14_vgpr15
                                        ; implicit-def: $vgpr30_vgpr31
                                        ; implicit-def: $vgpr34_vgpr35
                                        ; implicit-def: $vgpr26_vgpr27
	s_xor_b64 exec, exec, s[4:5]
	s_cbranch_execz .LBB0_13
; %bb.12:
	v_mad_u64_u32 v[0:1], s[0:1], s2, v72, 0
	v_add_u32_e32 v5, 0x15f, v72
	v_mov_b32_e32 v4, s13
	v_mad_u64_u32 v[1:2], s[0:1], s3, v72, v[1:2]
	v_mad_u64_u32 v[2:3], s[0:1], s2, v5, 0
	v_add_co_u32_e64 v8, s[0:1], s12, v48
	v_addc_co_u32_e64 v9, s[0:1], v4, v49, s[0:1]
	v_mad_u64_u32 v[3:4], s[0:1], s3, v5, v[3:4]
	v_add_u32_e32 v6, 0x2be, v72
	v_mad_u64_u32 v[4:5], s[0:1], s2, v6, 0
	v_lshlrev_b64 v[0:1], 4, v[0:1]
	v_add_u32_e32 v73, 0x75, v72
	v_add_co_u32_e64 v36, s[0:1], v8, v0
	v_addc_co_u32_e64 v37, s[0:1], v9, v1, s[0:1]
	v_lshlrev_b64 v[0:1], 4, v[2:3]
	v_mov_b32_e32 v2, v5
	v_mad_u64_u32 v[2:3], s[0:1], s3, v6, v[2:3]
	v_mad_u64_u32 v[6:7], s[0:1], s2, v73, 0
	v_add_co_u32_e64 v38, s[0:1], v8, v0
	v_mov_b32_e32 v5, v2
	v_mov_b32_e32 v2, v7
	v_addc_co_u32_e64 v39, s[0:1], v9, v1, s[0:1]
	v_lshlrev_b64 v[0:1], 4, v[4:5]
	v_mad_u64_u32 v[2:3], s[0:1], s3, v73, v[2:3]
	v_add_u32_e32 v5, 0x1d4, v72
	v_mad_u64_u32 v[3:4], s[0:1], s2, v5, 0
	v_add_co_u32_e64 v40, s[0:1], v8, v0
	v_mov_b32_e32 v7, v2
	v_mov_b32_e32 v2, v4
	v_addc_co_u32_e64 v41, s[0:1], v9, v1, s[0:1]
	v_lshlrev_b64 v[0:1], 4, v[6:7]
	v_mad_u64_u32 v[4:5], s[0:1], s3, v5, v[2:3]
	v_add_u32_e32 v7, 0x333, v72
	v_mad_u64_u32 v[5:6], s[0:1], s2, v7, 0
	v_add_co_u32_e64 v42, s[0:1], v8, v0
	v_mov_b32_e32 v2, v6
	v_addc_co_u32_e64 v43, s[0:1], v9, v1, s[0:1]
	v_lshlrev_b64 v[0:1], 4, v[3:4]
	v_mad_u64_u32 v[2:3], s[0:1], s3, v7, v[2:3]
	v_add_u32_e32 v74, 0xea, v72
	v_mad_u64_u32 v[3:4], s[0:1], s2, v74, 0
	v_add_co_u32_e64 v44, s[0:1], v8, v0
	v_mov_b32_e32 v6, v2
	v_mov_b32_e32 v2, v4
	v_addc_co_u32_e64 v45, s[0:1], v9, v1, s[0:1]
	v_lshlrev_b64 v[0:1], 4, v[5:6]
	v_mad_u64_u32 v[4:5], s[0:1], s3, v74, v[2:3]
	v_add_u32_e32 v7, 0x249, v72
	v_mad_u64_u32 v[5:6], s[0:1], s2, v7, 0
	v_add_co_u32_e64 v46, s[0:1], v8, v0
	v_mov_b32_e32 v2, v6
	v_addc_co_u32_e64 v47, s[0:1], v9, v1, s[0:1]
	v_lshlrev_b64 v[0:1], 4, v[3:4]
	v_mad_u64_u32 v[2:3], s[0:1], s3, v7, v[2:3]
	v_add_u32_e32 v7, 0x3a8, v72
	v_mad_u64_u32 v[3:4], s[0:1], s2, v7, 0
	v_add_co_u32_e64 v50, s[0:1], v8, v0
	v_mov_b32_e32 v6, v2
	v_mov_b32_e32 v2, v4
	v_addc_co_u32_e64 v51, s[0:1], v9, v1, s[0:1]
	v_lshlrev_b64 v[0:1], 4, v[5:6]
	v_mad_u64_u32 v[4:5], s[0:1], s3, v7, v[2:3]
	v_add_co_u32_e64 v52, s[0:1], v8, v0
	v_addc_co_u32_e64 v53, s[0:1], v9, v1, s[0:1]
	v_lshlrev_b64 v[0:1], 4, v[3:4]
	v_add_co_u32_e64 v54, s[0:1], v8, v0
	v_addc_co_u32_e64 v55, s[0:1], v9, v1, s[0:1]
	global_load_dwordx4 v[24:27], v[36:37], off
	global_load_dwordx4 v[32:35], v[38:39], off
	;; [unrolled: 1-line block ×9, first 2 shown]
.LBB0_13:
	s_or_b64 exec, exec, s[4:5]
	s_waitcnt vmcnt(7)
	v_add_f64 v[36:37], v[32:33], v[24:25]
	v_add_f64 v[38:39], v[34:35], v[26:27]
	s_waitcnt vmcnt(6)
	v_add_f64 v[40:41], v[28:29], v[32:33]
	s_waitcnt vmcnt(4)
	v_add_f64 v[44:45], v[20:21], v[12:13]
	v_add_f64 v[42:43], v[30:31], v[34:35]
	v_add_f64 v[34:35], v[34:35], -v[30:31]
	v_add_f64 v[32:33], v[32:33], -v[28:29]
	s_mov_b32 s4, 0xe8584caa
	v_add_f64 v[28:29], v[28:29], v[36:37]
	v_add_f64 v[30:31], v[30:31], v[38:39]
	;; [unrolled: 1-line block ×3, first 2 shown]
	v_fma_f64 v[24:25], v[40:41], -0.5, v[24:25]
	s_waitcnt vmcnt(3)
	v_add_f64 v[38:39], v[16:17], v[20:21]
	v_add_f64 v[40:41], v[18:19], v[22:23]
	v_add_f64 v[20:21], v[20:21], -v[16:17]
	v_add_f64 v[16:17], v[16:17], v[44:45]
	s_waitcnt vmcnt(0)
	v_add_f64 v[44:45], v[8:9], v[4:5]
	v_fma_f64 v[26:27], v[42:43], -0.5, v[26:27]
	v_add_f64 v[22:23], v[22:23], -v[18:19]
	v_add_f64 v[18:19], v[18:19], v[36:37]
	v_add_f64 v[36:37], v[4:5], v[0:1]
	;; [unrolled: 1-line block ×3, first 2 shown]
	v_fma_f64 v[12:13], v[38:39], -0.5, v[12:13]
	v_fma_f64 v[38:39], v[40:41], -0.5, v[14:15]
	v_add_f64 v[14:15], v[6:7], -v[10:11]
	v_fma_f64 v[0:1], v[44:45], -0.5, v[0:1]
	v_add_f64 v[6:7], v[10:11], v[6:7]
	s_mov_b32 s5, 0x3febb67a
	s_mov_b32 s7, 0xbfebb67a
	;; [unrolled: 1-line block ×3, first 2 shown]
	v_add_f64 v[40:41], v[4:5], -v[8:9]
	v_add_f64 v[4:5], v[8:9], v[36:37]
	v_add_f64 v[36:37], v[10:11], v[42:43]
	v_fma_f64 v[8:9], v[34:35], s[4:5], v[24:25]
	v_fma_f64 v[10:11], v[34:35], s[6:7], v[24:25]
	;; [unrolled: 1-line block ×6, first 2 shown]
	v_fma_f64 v[2:3], v[6:7], -0.5, v[2:3]
	v_mad_u32_u24 v34, v72, 24, 0
	v_mad_i32_i24 v76, v73, 24, 0
	v_mad_i32_i24 v77, v74, 24, 0
	ds_write2_b64 v34, v[28:29], v[8:9] offset1:1
	ds_write_b64 v34, v[10:11] offset:16
	ds_write2_b64 v76, v[16:17], v[24:25] offset1:1
	ds_write_b64 v76, v[12:13] offset:16
	;; [unrolled: 2-line block ×3, first 2 shown]
	v_lshlrev_b32_e32 v0, 4, v72
	v_sub_u32_e32 v75, v34, v0
	v_fma_f64 v[0:1], v[32:33], s[6:7], v[26:27]
	v_fma_f64 v[16:17], v[32:33], s[4:5], v[26:27]
	;; [unrolled: 1-line block ×6, first 2 shown]
	v_add_u32_e32 v23, 0x800, v75
	v_add_u32_e32 v22, 0x1000, v75
	v_lshlrev_b32_e32 v80, 4, v73
	v_lshlrev_b32_e32 v81, 4, v74
	s_movk_i32 s0, 0xab
	s_waitcnt lgkmcnt(0)
	s_barrier
	ds_read2_b64 v[4:7], v23 offset0:95 offset1:212
	ds_read2_b64 v[8:11], v22 offset0:73 offset1:190
	v_sub_u32_e32 v78, v76, v80
	v_add_u32_e32 v24, 0x1800, v75
	v_sub_u32_e32 v79, v77, v81
	ds_read_b64 v[62:63], v75
	ds_read_b64 v[64:65], v78
	ds_read_b64 v[66:67], v79
	ds_read2_b64 v[12:15], v24 offset0:51 offset1:168
	s_waitcnt lgkmcnt(0)
	s_barrier
	ds_write2_b64 v34, v[30:31], v[0:1] offset1:1
	ds_write_b64 v34, v[16:17] offset:16
	ds_write2_b64 v76, v[18:19], v[25:26] offset1:1
	ds_write_b64 v76, v[20:21] offset:16
	;; [unrolled: 2-line block ×3, first 2 shown]
	v_mul_lo_u16_sdwa v2, v73, s0 dst_sel:DWORD dst_unused:UNUSED_PAD src0_sel:BYTE_0 src1_sel:DWORD
	v_lshrrev_b16_e32 v83, 9, v2
	v_mul_lo_u16_e32 v2, 3, v83
	v_mov_b32_e32 v1, 5
	v_sub_u16_e32 v84, v73, v2
	v_lshlrev_b32_sdwa v2, v1, v84 dst_sel:DWORD dst_unused:UNUSED_PAD src0_sel:DWORD src1_sel:BYTE_0
	s_waitcnt lgkmcnt(0)
	s_barrier
	global_load_dwordx4 v[16:19], v2, s[8:9]
	global_load_dwordx4 v[25:28], v2, s[8:9] offset:16
	v_mul_lo_u16_sdwa v0, v72, s0 dst_sel:DWORD dst_unused:UNUSED_PAD src0_sel:BYTE_0 src1_sel:DWORD
	v_lshrrev_b16_e32 v82, 9, v0
	v_mul_lo_u16_e32 v0, 3, v82
	v_sub_u16_e32 v85, v72, v0
	v_lshlrev_b32_sdwa v0, v1, v85 dst_sel:DWORD dst_unused:UNUSED_PAD src0_sel:DWORD src1_sel:BYTE_0
	global_load_dwordx4 v[32:35], v0, s[8:9]
	global_load_dwordx4 v[36:39], v0, s[8:9] offset:16
	s_mov_b32 s0, 0xaaab
	v_mul_u32_u24_sdwa v0, v74, s0 dst_sel:DWORD dst_unused:UNUSED_PAD src0_sel:WORD_0 src1_sel:DWORD
	v_lshrrev_b32_e32 v86, 17, v0
	v_mul_lo_u16_e32 v0, 3, v86
	v_sub_u16_e32 v87, v74, v0
	v_lshlrev_b32_e32 v0, 5, v87
	global_load_dwordx4 v[44:47], v0, s[8:9]
	global_load_dwordx4 v[50:53], v0, s[8:9] offset:16
	ds_read2_b64 v[40:43], v23 offset0:95 offset1:212
	ds_read2_b64 v[54:57], v24 offset0:51 offset1:168
	ds_read2_b64 v[58:61], v22 offset0:73 offset1:190
	s_movk_i32 s0, 0x51
	v_cmp_gt_u32_e64 s[0:1], s0, v72
	s_waitcnt vmcnt(5) lgkmcnt(2)
	v_mul_f64 v[0:1], v[42:43], v[18:19]
	s_waitcnt vmcnt(4) lgkmcnt(1)
	v_mul_f64 v[2:3], v[54:55], v[27:28]
	s_waitcnt vmcnt(3)
	v_mul_f64 v[20:21], v[40:41], v[34:35]
	s_waitcnt vmcnt(2) lgkmcnt(0)
	v_mul_f64 v[68:69], v[60:61], v[38:39]
	v_mul_f64 v[70:71], v[4:5], v[34:35]
	v_fma_f64 v[0:1], v[6:7], v[16:17], -v[0:1]
	v_mul_f64 v[6:7], v[6:7], v[18:19]
	v_fma_f64 v[2:3], v[12:13], v[25:26], -v[2:3]
	;; [unrolled: 2-line block ×4, first 2 shown]
	s_waitcnt vmcnt(1)
	v_mul_f64 v[10:11], v[58:59], v[46:47]
	v_fma_f64 v[38:39], v[40:41], v[32:33], v[70:71]
	v_fma_f64 v[28:29], v[42:43], v[16:17], v[6:7]
	v_add_f64 v[6:7], v[0:1], v[2:3]
	v_fma_f64 v[32:33], v[54:55], v[25:26], v[12:13]
	s_waitcnt vmcnt(0)
	v_mul_f64 v[12:13], v[56:57], v[52:53]
	v_fma_f64 v[36:37], v[60:61], v[36:37], v[4:5]
	v_add_f64 v[4:5], v[30:31], v[34:35]
	v_fma_f64 v[40:41], v[8:9], v[44:45], -v[10:11]
	v_mul_f64 v[8:9], v[8:9], v[46:47]
	v_mul_f64 v[10:11], v[14:15], v[52:53]
	v_fma_f64 v[6:7], v[6:7], -0.5, v[64:65]
	v_add_f64 v[16:17], v[28:29], -v[32:33]
	v_fma_f64 v[42:43], v[14:15], v[50:51], -v[12:13]
	v_add_f64 v[12:13], v[62:63], v[30:31]
	v_fma_f64 v[14:15], v[4:5], -0.5, v[62:63]
	v_add_f64 v[18:19], v[38:39], -v[36:37]
	v_add_f64 v[20:21], v[64:65], v[0:1]
	v_fma_f64 v[46:47], v[58:59], v[44:45], v[8:9]
	v_fma_f64 v[44:45], v[56:57], v[50:51], v[10:11]
	;; [unrolled: 1-line block ×4, first 2 shown]
	v_add_f64 v[16:17], v[40:41], v[42:43]
	v_add_f64 v[4:5], v[12:13], v[34:35]
	v_fma_f64 v[6:7], v[18:19], s[4:5], v[14:15]
	v_fma_f64 v[12:13], v[18:19], s[6:7], v[14:15]
	v_mov_b32_e32 v19, 3
	v_add_f64 v[14:15], v[20:21], v[2:3]
	v_mul_u32_u24_e32 v18, 0x48, v82
	v_lshlrev_b32_sdwa v20, v19, v85 dst_sel:DWORD dst_unused:UNUSED_PAD src0_sel:DWORD src1_sel:BYTE_0
	v_add3_u32 v56, 0, v18, v20
	v_fma_f64 v[20:21], v[16:17], -0.5, v[66:67]
	v_add_f64 v[16:17], v[66:67], v[40:41]
	v_add_f64 v[25:26], v[46:47], -v[44:45]
	v_lshlrev_b32_sdwa v18, v19, v84 dst_sel:DWORD dst_unused:UNUSED_PAD src0_sel:DWORD src1_sel:BYTE_0
	v_mul_u32_u24_e32 v19, 0x48, v83
	v_add3_u32 v57, 0, v19, v18
	v_mul_u32_u24_e32 v18, 0x48, v86
	v_lshlrev_b32_e32 v19, 3, v87
	v_add3_u32 v58, 0, v18, v19
	v_add_f64 v[16:17], v[16:17], v[42:43]
	v_fma_f64 v[18:19], v[25:26], s[4:5], v[20:21]
	v_fma_f64 v[20:21], v[25:26], s[6:7], v[20:21]
	ds_read_b64 v[50:51], v79
	ds_read_b64 v[52:53], v78
	;; [unrolled: 1-line block ×3, first 2 shown]
	s_waitcnt lgkmcnt(0)
	s_barrier
	ds_write2_b64 v56, v[4:5], v[6:7] offset1:3
	ds_write_b64 v56, v[12:13] offset:48
	ds_write2_b64 v57, v[14:15], v[8:9] offset1:3
	ds_write_b64 v57, v[10:11] offset:48
	;; [unrolled: 2-line block ×3, first 2 shown]
	s_waitcnt lgkmcnt(0)
	s_barrier
	s_waitcnt lgkmcnt(0)
                                        ; implicit-def: $vgpr68_vgpr69
                                        ; implicit-def: $vgpr26_vgpr27
	s_and_saveexec_b64 s[10:11], s[0:1]
	s_cbranch_execz .LBB0_15
; %bb.14:
	v_add_u32_e32 v16, 0xc00, v75
	ds_read2_b64 v[4:7], v75 offset1:81
	ds_read2_b64 v[12:15], v75 offset0:162 offset1:243
	ds_read2_b64 v[8:11], v23 offset0:68 offset1:149
	;; [unrolled: 1-line block ×5, first 2 shown]
	ds_read_b64 v[68:69], v75 offset:7776
.LBB0_15:
	s_or_b64 exec, exec, s[10:11]
	v_add_f64 v[59:60], v[38:39], v[36:37]
	v_add_f64 v[61:62], v[28:29], v[32:33]
	v_add_f64 v[34:35], v[30:31], -v[34:35]
	v_add_f64 v[30:31], v[46:47], v[44:45]
	v_add_f64 v[38:39], v[54:55], v[38:39]
	;; [unrolled: 1-line block ×3, first 2 shown]
	v_add_f64 v[63:64], v[0:1], -v[2:3]
	v_add_f64 v[2:3], v[50:51], v[46:47]
	v_fma_f64 v[46:47], v[59:60], -0.5, v[54:55]
	v_add_f64 v[40:41], v[40:41], -v[42:43]
	v_fma_f64 v[42:43], v[61:62], -0.5, v[52:53]
	v_fma_f64 v[50:51], v[30:31], -0.5, v[50:51]
	v_add_f64 v[0:1], v[38:39], v[36:37]
	v_add_f64 v[30:31], v[28:29], v[32:33]
	s_waitcnt lgkmcnt(0)
	v_add_f64 v[32:33], v[2:3], v[44:45]
	v_fma_f64 v[2:3], v[34:35], s[6:7], v[46:47]
	v_fma_f64 v[28:29], v[34:35], s[4:5], v[46:47]
	;; [unrolled: 1-line block ×6, first 2 shown]
	s_barrier
	ds_write2_b64 v56, v[0:1], v[2:3] offset1:3
	ds_write_b64 v56, v[28:29] offset:48
	ds_write2_b64 v57, v[30:31], v[36:37] offset1:3
	ds_write_b64 v57, v[38:39] offset:48
	;; [unrolled: 2-line block ×3, first 2 shown]
	s_waitcnt lgkmcnt(0)
	s_barrier
	s_waitcnt lgkmcnt(0)
                                        ; implicit-def: $vgpr70_vgpr71
                                        ; implicit-def: $vgpr46_vgpr47
	s_and_saveexec_b64 s[4:5], s[0:1]
	s_cbranch_execz .LBB0_17
; %bb.16:
	v_add_u32_e32 v32, 0x800, v75
	ds_read2_b64 v[0:3], v75 offset1:81
	ds_read2_b64 v[28:31], v75 offset0:162 offset1:243
	ds_read2_b64 v[36:39], v32 offset0:68 offset1:149
	v_add_u32_e32 v32, 0xc00, v75
	v_add_u32_e32 v40, 0x1000, v75
	;; [unrolled: 1-line block ×3, first 2 shown]
	ds_read2_b64 v[32:35], v32 offset0:102 offset1:183
	ds_read2_b64 v[40:43], v40 offset0:136 offset1:217
	;; [unrolled: 1-line block ×3, first 2 shown]
	ds_read_b64 v[70:71], v75 offset:7776
.LBB0_17:
	s_or_b64 exec, exec, s[4:5]
	v_mov_b32_e32 v50, 57
	v_mul_lo_u16_sdwa v50, v72, v50 dst_sel:DWORD dst_unused:UNUSED_PAD src0_sel:BYTE_0 src1_sel:DWORD
	v_lshrrev_b16_e32 v78, 9, v50
	v_mul_lo_u16_e32 v50, 9, v78
	v_sub_u16_e32 v79, v72, v50
	v_mov_b32_e32 v50, 12
	v_mul_u32_u24_sdwa v50, v79, v50 dst_sel:DWORD dst_unused:UNUSED_PAD src0_sel:BYTE_0 src1_sel:DWORD
	v_lshlrev_b32_e32 v58, 4, v50
	global_load_dwordx4 v[50:53], v58, s[8:9] offset:112
	global_load_dwordx4 v[54:57], v58, s[8:9] offset:128
	;; [unrolled: 1-line block ×12, first 2 shown]
	s_waitcnt vmcnt(0) lgkmcnt(0)
	s_barrier
	v_mul_f64 v[58:59], v[28:29], v[52:53]
	v_mul_f64 v[52:53], v[12:13], v[52:53]
	;; [unrolled: 1-line block ×24, first 2 shown]
	v_fma_f64 v[58:59], v[12:13], v[50:51], -v[58:59]
	v_fma_f64 v[60:61], v[28:29], v[50:51], v[52:53]
	v_fma_f64 v[56:57], v[14:15], v[54:55], -v[66:67]
	v_fma_f64 v[54:55], v[30:31], v[54:55], v[118:119]
	;; [unrolled: 2-line block ×12, first 2 shown]
	v_sub_u32_e32 v10, 0, v80
	v_sub_u32_e32 v42, 0, v81
	s_and_saveexec_b64 s[4:5], s[0:1]
	s_cbranch_execz .LBB0_19
; %bb.18:
	v_add_f64 v[70:71], v[66:67], -v[26:27]
	s_mov_b32 s20, 0x4bc48dbf
	s_mov_b32 s21, 0xbfcea1e5
	v_add_f64 v[88:89], v[60:61], -v[40:41]
	v_add_f64 v[90:91], v[64:65], v[68:69]
	s_mov_b32 s18, 0x93053d00
	s_mov_b32 s31, 0x3fddbe06
	;; [unrolled: 1-line block ×3, first 2 shown]
	v_mul_f64 v[92:93], v[70:71], s[20:21]
	s_mov_b32 s19, 0xbfef11f4
	v_add_f64 v[94:95], v[54:55], -v[24:25]
	v_add_f64 v[96:97], v[58:59], v[62:63]
	v_mul_f64 v[98:99], v[88:89], s[30:31]
	s_mov_b32 s24, 0x24c2f84
	s_mov_b32 s22, 0xe00740e9
	;; [unrolled: 1-line block ×3, first 2 shown]
	v_fma_f64 v[100:101], v[90:91], s[18:19], v[92:93]
	s_mov_b32 s23, 0x3fec55a7
	v_add_f64 v[86:87], v[50:51], -v[22:23]
	v_add_f64 v[102:103], v[56:57], v[38:39]
	v_mul_f64 v[104:105], v[94:95], s[24:25]
	v_fma_f64 v[106:107], v[96:97], s[22:23], v[98:99]
	s_mov_b32 s40, 0x42a4c3d2
	s_mov_b32 s26, 0xd0032e0c
	v_add_f64 v[100:101], v[4:5], v[100:101]
	s_mov_b32 s41, 0x3fea55e2
	s_mov_b32 s27, 0xbfe7f3cc
	v_add_f64 v[6:7], v[30:31], -v[20:21]
	v_add_f64 v[84:85], v[52:53], v[34:35]
	v_fma_f64 v[92:93], v[90:91], s[18:19], -v[92:93]
	v_mul_f64 v[108:109], v[86:87], s[40:41]
	v_fma_f64 v[110:111], v[102:103], s[26:27], v[104:105]
	v_mul_f64 v[112:113], v[70:71], s[24:25]
	v_add_f64 v[100:101], v[106:107], v[100:101]
	s_mov_b32 s16, 0x66966769
	s_mov_b32 s14, 0x2ef20147
	;; [unrolled: 1-line block ×6, first 2 shown]
	v_add_f64 v[2:3], v[14:15], -v[16:17]
	v_add_f64 v[11:12], v[36:37], v[32:33]
	v_mul_f64 v[45:46], v[6:7], s[14:15]
	v_fma_f64 v[98:99], v[96:97], s[22:23], -v[98:99]
	v_add_f64 v[92:93], v[4:5], v[92:93]
	v_fma_f64 v[106:107], v[84:85], s[28:29], v[108:109]
	v_mul_f64 v[114:115], v[88:89], s[16:17]
	v_fma_f64 v[116:117], v[90:91], s[26:27], v[112:113]
	v_add_f64 v[100:101], v[110:111], v[100:101]
	s_mov_b32 s6, 0xebaa3ed8
	s_mov_b32 s10, 0xb2365da1
	;; [unrolled: 1-line block ×6, first 2 shown]
	v_add_f64 v[8:9], v[28:29], v[18:19]
	v_mul_f64 v[43:44], v[2:3], s[16:17]
	v_fma_f64 v[82:83], v[11:12], s[10:11], v[45:46]
	v_fma_f64 v[104:105], v[102:103], s[26:27], -v[104:105]
	v_add_f64 v[92:93], v[98:99], v[92:93]
	v_mul_f64 v[98:99], v[94:95], s[34:35]
	v_fma_f64 v[110:111], v[96:97], s[6:7], v[114:115]
	v_add_f64 v[116:117], v[4:5], v[116:117]
	v_add_f64 v[100:101], v[106:107], v[100:101]
	s_mov_b32 s43, 0x3fcea1e5
	s_mov_b32 s42, s20
	v_fma_f64 v[80:81], v[8:9], s[6:7], v[43:44]
	v_fma_f64 v[106:107], v[84:85], s[28:29], -v[108:109]
	v_add_f64 v[92:93], v[104:105], v[92:93]
	v_mul_f64 v[104:105], v[86:87], s[42:43]
	v_fma_f64 v[108:109], v[102:103], s[28:29], v[98:99]
	v_add_f64 v[110:111], v[110:111], v[116:117]
	v_add_f64 v[82:83], v[82:83], v[100:101]
	v_mul_f64 v[100:101], v[6:7], s[30:31]
	s_mov_b32 s39, 0x3fe5384d
	s_mov_b32 s38, s24
	v_add_f64 v[92:93], v[106:107], v[92:93]
	v_fma_f64 v[106:107], v[84:85], s[18:19], v[104:105]
	v_fma_f64 v[45:46], v[11:12], s[10:11], -v[45:46]
	v_add_f64 v[108:109], v[108:109], v[110:111]
	v_add_f64 v[80:81], v[80:81], v[82:83]
	v_mul_f64 v[82:83], v[70:71], s[14:15]
	v_fma_f64 v[110:111], v[90:91], s[26:27], -v[112:113]
	v_fma_f64 v[112:113], v[11:12], s[22:23], v[100:101]
	v_fma_f64 v[43:44], v[8:9], s[6:7], -v[43:44]
	v_fma_f64 v[114:115], v[96:97], s[6:7], -v[114:115]
	v_add_f64 v[45:46], v[45:46], v[92:93]
	v_add_f64 v[106:107], v[106:107], v[108:109]
	v_mul_f64 v[108:109], v[88:89], s[38:39]
	v_fma_f64 v[116:117], v[90:91], s[10:11], v[82:83]
	v_mul_f64 v[92:93], v[2:3], s[14:15]
	v_add_f64 v[110:111], v[4:5], v[110:111]
	s_mov_b32 s37, 0xbfefc445
	s_mov_b32 s36, s16
	v_add_f64 v[43:44], v[43:44], v[45:46]
	v_add_f64 v[106:107], v[112:113], v[106:107]
	v_mul_f64 v[112:113], v[94:95], s[30:31]
	v_fma_f64 v[118:119], v[96:97], s[26:27], v[108:109]
	v_add_f64 v[116:117], v[4:5], v[116:117]
	v_fma_f64 v[45:46], v[8:9], s[10:11], v[92:93]
	v_fma_f64 v[98:99], v[102:103], s[28:29], -v[98:99]
	v_add_f64 v[110:111], v[114:115], v[110:111]
	v_mul_f64 v[114:115], v[86:87], s[36:37]
	v_fma_f64 v[82:83], v[90:91], s[10:11], -v[82:83]
	v_fma_f64 v[120:121], v[102:103], s[22:23], v[112:113]
	v_fma_f64 v[104:105], v[84:85], s[18:19], -v[104:105]
	v_add_f64 v[116:117], v[118:119], v[116:117]
	v_add_f64 v[45:46], v[45:46], v[106:107]
	v_mul_f64 v[106:107], v[6:7], s[42:43]
	v_add_f64 v[98:99], v[98:99], v[110:111]
	v_fma_f64 v[110:111], v[84:85], s[6:7], v[114:115]
	v_fma_f64 v[108:109], v[96:97], s[26:27], -v[108:109]
	v_add_f64 v[82:83], v[4:5], v[82:83]
	v_fma_f64 v[100:101], v[11:12], s[22:23], -v[100:101]
	v_add_f64 v[116:117], v[120:121], v[116:117]
	v_fma_f64 v[112:113], v[102:103], s[22:23], -v[112:113]
	v_fma_f64 v[118:119], v[11:12], s[18:19], v[106:107]
	v_add_f64 v[98:99], v[104:105], v[98:99]
	v_mul_f64 v[104:105], v[2:3], s[40:41]
	v_mul_f64 v[120:121], v[70:71], s[36:37]
	v_add_f64 v[82:83], v[108:109], v[82:83]
	s_mov_b32 s41, 0x3fedeba7
	v_add_f64 v[108:109], v[110:111], v[116:117]
	v_fma_f64 v[110:111], v[84:85], s[6:7], -v[114:115]
	v_mul_f64 v[114:115], v[88:89], s[20:21]
	v_add_f64 v[98:99], v[100:101], v[98:99]
	v_fma_f64 v[100:101], v[8:9], s[28:29], v[104:105]
	v_fma_f64 v[116:117], v[90:91], s[6:7], v[120:121]
	v_add_f64 v[82:83], v[112:113], v[82:83]
	s_mov_b32 s40, s14
	v_add_f64 v[108:109], v[118:119], v[108:109]
	v_mul_f64 v[112:113], v[94:95], s[40:41]
	v_fma_f64 v[118:119], v[96:97], s[18:19], v[114:115]
	v_fma_f64 v[92:93], v[8:9], s[10:11], -v[92:93]
	v_fma_f64 v[114:115], v[96:97], s[18:19], -v[114:115]
	v_add_f64 v[116:117], v[4:5], v[116:117]
	v_add_f64 v[82:83], v[110:111], v[82:83]
	;; [unrolled: 1-line block ×4, first 2 shown]
	v_fma_f64 v[108:109], v[90:91], s[6:7], -v[120:121]
	v_fma_f64 v[120:121], v[102:103], s[10:11], v[112:113]
	v_add_f64 v[92:93], v[92:93], v[98:99]
	v_mul_f64 v[98:99], v[86:87], s[30:31]
	v_add_f64 v[116:117], v[118:119], v[116:117]
	v_mul_f64 v[118:119], v[70:71], s[34:35]
	;; [unrolled: 2-line block ×3, first 2 shown]
	v_add_f64 v[108:109], v[4:5], v[108:109]
	s_mov_b32 s31, 0xbfddbe06
	v_mul_f64 v[70:71], v[70:71], s[30:31]
	v_fma_f64 v[112:113], v[102:103], s[10:11], -v[112:113]
	v_add_f64 v[116:117], v[120:121], v[116:117]
	v_fma_f64 v[120:121], v[90:91], s[28:29], v[118:119]
	v_add_f64 v[110:111], v[110:111], v[56:57]
	v_fma_f64 v[118:119], v[90:91], s[28:29], -v[118:119]
	v_add_f64 v[108:109], v[114:115], v[108:109]
	v_mul_f64 v[114:115], v[88:89], s[14:15]
	v_fma_f64 v[126:127], v[90:91], s[22:23], -v[70:71]
	v_fma_f64 v[70:71], v[90:91], s[22:23], v[70:71]
	v_mul_f64 v[90:91], v[94:95], s[20:21]
	v_add_f64 v[120:121], v[4:5], v[120:121]
	v_add_f64 v[110:111], v[110:111], v[52:53]
	v_fma_f64 v[106:107], v[11:12], s[18:19], -v[106:107]
	v_add_f64 v[108:109], v[112:113], v[108:109]
	v_fma_f64 v[112:113], v[96:97], s[10:11], v[114:115]
	v_mul_f64 v[88:89], v[88:89], s[34:35]
	v_fma_f64 v[124:125], v[84:85], s[22:23], v[98:99]
	v_fma_f64 v[128:129], v[102:103], s[18:19], v[90:91]
	v_add_f64 v[126:127], v[4:5], v[126:127]
	v_add_f64 v[110:111], v[110:111], v[36:37]
	;; [unrolled: 1-line block ×3, first 2 shown]
	v_mul_f64 v[106:107], v[6:7], s[34:35]
	v_add_f64 v[112:113], v[112:113], v[120:121]
	v_mul_f64 v[120:121], v[86:87], s[38:39]
	v_mul_f64 v[94:95], v[94:95], s[36:37]
	v_add_f64 v[118:119], v[4:5], v[118:119]
	v_fma_f64 v[114:115], v[96:97], s[10:11], -v[114:115]
	v_add_f64 v[110:111], v[110:111], v[28:29]
	v_add_f64 v[4:5], v[4:5], v[70:71]
	;; [unrolled: 1-line block ×4, first 2 shown]
	v_fma_f64 v[128:129], v[84:85], s[26:27], v[120:121]
	v_fma_f64 v[124:125], v[11:12], s[28:29], v[106:107]
	v_mul_f64 v[86:87], v[86:87], s[14:15]
	v_fma_f64 v[90:91], v[102:103], s[18:19], -v[90:91]
	v_add_f64 v[110:111], v[110:111], v[18:19]
	v_add_f64 v[114:115], v[114:115], v[118:119]
	v_fma_f64 v[98:99], v[84:85], s[22:23], -v[98:99]
	v_mul_f64 v[70:71], v[2:3], s[24:25]
	v_add_f64 v[112:113], v[128:129], v[112:113]
	v_fma_f64 v[128:129], v[96:97], s[28:29], -v[88:89]
	v_fma_f64 v[88:89], v[96:97], s[28:29], v[88:89]
	v_add_f64 v[116:117], v[124:125], v[116:117]
	v_add_f64 v[110:111], v[110:111], v[32:33]
	v_mul_f64 v[124:125], v[6:7], s[16:17]
	v_mul_f64 v[6:7], v[6:7], s[24:25]
	v_add_f64 v[90:91], v[90:91], v[114:115]
	v_mul_f64 v[2:3], v[2:3], s[20:21]
	v_add_f64 v[126:127], v[128:129], v[126:127]
	v_fma_f64 v[128:129], v[102:103], s[6:7], -v[94:95]
	v_fma_f64 v[94:95], v[102:103], s[6:7], v[94:95]
	v_add_f64 v[4:5], v[88:89], v[4:5]
	v_fma_f64 v[102:103], v[84:85], s[10:11], -v[86:87]
	v_add_f64 v[110:111], v[110:111], v[34:35]
	v_fma_f64 v[88:89], v[84:85], s[26:27], -v[120:121]
	v_fma_f64 v[84:85], v[84:85], s[10:11], v[86:87]
	v_fma_f64 v[96:97], v[11:12], s[6:7], v[124:125]
	v_add_f64 v[118:119], v[128:129], v[126:127]
	v_add_f64 v[98:99], v[98:99], v[108:109]
	;; [unrolled: 1-line block ×3, first 2 shown]
	v_fma_f64 v[94:95], v[11:12], s[26:27], -v[6:7]
	v_add_f64 v[110:111], v[110:111], v[38:39]
	v_fma_f64 v[106:107], v[11:12], s[28:29], -v[106:107]
	v_fma_f64 v[86:87], v[11:12], s[6:7], -v[124:125]
	v_add_f64 v[88:89], v[88:89], v[90:91]
	v_add_f64 v[102:103], v[102:103], v[118:119]
	v_fma_f64 v[6:7], v[11:12], s[26:27], v[6:7]
	v_add_f64 v[4:5], v[84:85], v[4:5]
	v_fma_f64 v[104:105], v[8:9], s[28:29], -v[104:105]
	v_add_f64 v[11:12], v[96:97], v[112:113]
	v_fma_f64 v[90:91], v[8:9], s[18:19], -v[2:3]
	v_add_f64 v[96:97], v[110:111], v[62:63]
	v_fma_f64 v[108:109], v[8:9], s[26:27], v[70:71]
	v_add_f64 v[94:95], v[94:95], v[102:103]
	v_fma_f64 v[70:71], v[8:9], s[26:27], -v[70:71]
	v_add_f64 v[98:99], v[106:107], v[98:99]
	v_fma_f64 v[84:85], v[8:9], s[22:23], -v[122:123]
	v_add_f64 v[86:87], v[86:87], v[88:89]
	v_fma_f64 v[106:107], v[8:9], s[22:23], v[122:123]
	v_fma_f64 v[2:3], v[8:9], s[18:19], v[2:3]
	v_add_f64 v[4:5], v[6:7], v[4:5]
	v_add_f64 v[6:7], v[104:105], v[82:83]
	;; [unrolled: 1-line block ×9, first 2 shown]
	v_mov_b32_e32 v5, 3
	v_mul_u32_u24_e32 v4, 0x3a8, v78
	v_lshlrev_b32_sdwa v5, v5, v79 dst_sel:DWORD dst_unused:UNUSED_PAD src0_sel:DWORD src1_sel:BYTE_0
	v_add3_u32 v4, 0, v4, v5
	ds_write2_b64 v4, v[88:89], v[82:83] offset1:9
	ds_write2_b64 v4, v[84:85], v[70:71] offset0:18 offset1:27
	ds_write2_b64 v4, v[6:7], v[92:93] offset0:36 offset1:45
	;; [unrolled: 1-line block ×5, first 2 shown]
	ds_write_b64 v4, v[2:3] offset:864
.LBB0_19:
	s_or_b64 exec, exec, s[4:5]
	v_add_u32_e32 v80, 0x800, v75
	v_add_u32_e32 v81, 0x1000, v75
	;; [unrolled: 1-line block ×4, first 2 shown]
	s_waitcnt lgkmcnt(0)
	s_barrier
	ds_read2_b64 v[6:9], v80 offset0:95 offset1:212
	ds_read2_b64 v[2:5], v81 offset0:73 offset1:190
	;; [unrolled: 1-line block ×3, first 2 shown]
	v_add_u32_e32 v71, v77, v42
	ds_read_b64 v[46:47], v75
	ds_read_b64 v[44:45], v70
	;; [unrolled: 1-line block ×3, first 2 shown]
	s_waitcnt lgkmcnt(0)
	s_barrier
	s_and_saveexec_b64 s[4:5], s[0:1]
	s_cbranch_execz .LBB0_21
; %bb.20:
	v_add_f64 v[82:83], v[0:1], v[66:67]
	v_add_f64 v[64:65], v[64:65], -v[68:69]
	v_add_f64 v[58:59], v[58:59], -v[62:63]
	s_mov_b32 s24, 0x42a4c3d2
	s_mov_b32 s25, 0xbfea55e2
	v_add_f64 v[66:67], v[66:67], v[26:27]
	s_mov_b32 s0, 0x1ea71119
	s_mov_b32 s34, 0x66966769
	v_add_f64 v[68:69], v[82:83], v[60:61]
	v_mul_f64 v[82:83], v[64:65], s[24:25]
	s_mov_b32 s18, 0x2ef20147
	s_mov_b32 s1, 0x3fe22d96
	;; [unrolled: 1-line block ×4, first 2 shown]
	v_add_f64 v[60:61], v[60:61], v[40:41]
	v_mul_f64 v[84:85], v[64:65], s[34:35]
	v_add_f64 v[68:69], v[68:69], v[54:55]
	v_mul_f64 v[86:87], v[64:65], s[18:19]
	v_mul_f64 v[92:93], v[58:59], s[18:19]
	v_fma_f64 v[102:103], v[66:67], s[0:1], v[82:83]
	v_fma_f64 v[82:83], v[66:67], s[0:1], -v[82:83]
	s_mov_b32 s10, 0xebaa3ed8
	s_mov_b32 s16, 0xb2365da1
	;; [unrolled: 1-line block ×3, first 2 shown]
	v_add_f64 v[68:69], v[68:69], v[50:51]
	s_mov_b32 s28, 0x4bc48dbf
	s_mov_b32 s15, 0xbfddbe06
	;; [unrolled: 1-line block ×7, first 2 shown]
	v_add_f64 v[62:63], v[68:69], v[30:31]
	s_mov_b32 s37, 0x3fe5384d
	s_mov_b32 s36, s22
	v_mul_f64 v[68:69], v[64:65], s[14:15]
	v_mul_f64 v[88:89], v[64:65], s[22:23]
	;; [unrolled: 1-line block ×5, first 2 shown]
	v_add_f64 v[62:63], v[62:63], v[14:15]
	v_fma_f64 v[104:105], v[66:67], s[10:11], v[84:85]
	v_fma_f64 v[84:85], v[66:67], s[10:11], -v[84:85]
	v_fma_f64 v[106:107], v[66:67], s[16:17], v[86:87]
	v_fma_f64 v[86:87], v[66:67], s[16:17], -v[86:87]
	;; [unrolled: 2-line block ×3, first 2 shown]
	v_add_f64 v[82:83], v[0:1], v[82:83]
	v_add_f64 v[62:63], v[62:63], v[16:17]
	s_mov_b32 s6, 0xe00740e9
	s_mov_b32 s20, 0xd0032e0c
	;; [unrolled: 1-line block ×7, first 2 shown]
	v_add_f64 v[62:63], v[62:63], v[20:21]
	s_mov_b32 s30, s34
	s_mov_b32 s15, 0x3fddbe06
	v_mul_f64 v[90:91], v[58:59], s[24:25]
	v_mul_f64 v[98:99], v[58:59], s[30:31]
	v_fma_f64 v[100:101], v[66:67], s[6:7], v[68:69]
	v_fma_f64 v[68:69], v[66:67], s[6:7], -v[68:69]
	v_fma_f64 v[108:109], v[66:67], s[20:21], v[88:89]
	v_add_f64 v[62:63], v[62:63], v[22:23]
	v_fma_f64 v[88:89], v[66:67], s[20:21], -v[88:89]
	v_fma_f64 v[110:111], v[66:67], s[26:27], v[64:65]
	v_fma_f64 v[64:65], v[66:67], s[26:27], -v[64:65]
	v_add_f64 v[84:85], v[0:1], v[84:85]
	v_add_f64 v[86:87], v[0:1], v[86:87]
	;; [unrolled: 1-line block ×3, first 2 shown]
	v_add_f64 v[38:39], v[56:57], -v[38:39]
	v_add_f64 v[62:63], v[62:63], v[24:25]
	v_fma_f64 v[92:93], v[60:61], s[20:21], -v[96:97]
	v_mul_f64 v[58:59], v[58:59], s[14:15]
	v_fma_f64 v[66:67], v[60:61], s[0:1], v[90:91]
	v_fma_f64 v[90:91], v[60:61], s[0:1], -v[90:91]
	v_add_f64 v[100:101], v[0:1], v[100:101]
	v_add_f64 v[68:69], v[0:1], v[68:69]
	;; [unrolled: 1-line block ×10, first 2 shown]
	v_fma_f64 v[56:57], v[60:61], s[20:21], v[96:97]
	v_add_f64 v[26:27], v[40:41], v[26:27]
	v_fma_f64 v[40:41], v[60:61], s[26:27], -v[94:95]
	v_fma_f64 v[96:97], v[60:61], s[10:11], -v[98:99]
	v_add_f64 v[24:25], v[54:55], v[24:25]
	v_mul_f64 v[54:55], v[38:39], s[34:35]
	s_mov_b32 s39, 0x3fedeba7
	s_mov_b32 s38, s18
	v_fma_f64 v[114:115], v[60:61], s[26:27], v[94:95]
	v_add_f64 v[64:65], v[66:67], v[100:101]
	v_add_f64 v[40:41], v[40:41], v[84:85]
	;; [unrolled: 1-line block ×3, first 2 shown]
	v_fma_f64 v[92:93], v[60:61], s[6:7], v[58:59]
	v_fma_f64 v[58:59], v[60:61], s[6:7], -v[58:59]
	v_add_f64 v[66:67], v[90:91], v[68:69]
	v_fma_f64 v[94:95], v[60:61], s[10:11], v[98:99]
	v_add_f64 v[88:89], v[96:97], v[88:89]
	v_fma_f64 v[60:61], v[24:25], s[10:11], v[54:55]
	v_fma_f64 v[54:55], v[24:25], s[10:11], -v[54:55]
	v_mul_f64 v[96:97], v[38:39], s[38:39]
	v_add_f64 v[34:35], v[52:53], -v[34:35]
	v_add_f64 v[0:1], v[58:59], v[0:1]
	v_mul_f64 v[58:59], v[38:39], s[14:15]
	v_add_f64 v[86:87], v[94:95], v[108:109]
	v_mul_f64 v[94:95], v[38:39], s[28:29]
	v_add_f64 v[60:61], v[60:61], v[64:65]
	v_add_f64 v[54:55], v[54:55], v[66:67]
	v_fma_f64 v[64:65], v[24:25], s[16:17], v[96:97]
	v_fma_f64 v[66:67], v[24:25], s[16:17], -v[96:97]
	v_mul_f64 v[96:97], v[38:39], s[24:25]
	v_fma_f64 v[52:53], v[24:25], s[6:7], -v[58:59]
	v_add_f64 v[90:91], v[114:115], v[104:105]
	v_mul_f64 v[38:39], v[38:39], s[22:23]
	v_add_f64 v[22:23], v[50:51], v[22:23]
	v_mul_f64 v[50:51], v[34:35], s[18:19]
	v_add_f64 v[62:63], v[92:93], v[62:63]
	v_fma_f64 v[92:93], v[24:25], s[26:27], v[94:95]
	v_fma_f64 v[94:95], v[24:25], s[26:27], -v[94:95]
	v_add_f64 v[40:41], v[66:67], v[40:41]
	v_add_f64 v[52:53], v[52:53], v[84:85]
	v_fma_f64 v[66:67], v[24:25], s[0:1], -v[96:97]
	v_mul_f64 v[84:85], v[34:35], s[36:37]
	v_fma_f64 v[98:99], v[24:25], s[6:7], v[58:59]
	v_add_f64 v[58:59], v[64:65], v[90:91]
	v_fma_f64 v[64:65], v[24:25], s[0:1], v[96:97]
	v_fma_f64 v[90:91], v[24:25], s[20:21], v[38:39]
	v_fma_f64 v[24:25], v[24:25], s[20:21], -v[38:39]
	v_fma_f64 v[38:39], v[22:23], s[16:17], v[50:51]
	v_fma_f64 v[50:51], v[22:23], s[16:17], -v[50:51]
	v_add_f64 v[68:69], v[112:113], v[102:103]
	v_add_f64 v[82:83], v[94:95], v[82:83]
	;; [unrolled: 1-line block ×3, first 2 shown]
	v_fma_f64 v[88:89], v[22:23], s[20:21], v[84:85]
	v_fma_f64 v[84:85], v[22:23], s[20:21], -v[84:85]
	v_add_f64 v[0:1], v[24:25], v[0:1]
	v_add_f64 v[24:25], v[38:39], v[60:61]
	;; [unrolled: 1-line block ×3, first 2 shown]
	v_mul_f64 v[50:51], v[34:35], s[34:35]
	s_mov_b32 s35, 0x3fcea1e5
	s_mov_b32 s34, s28
	v_add_f64 v[68:69], v[92:93], v[68:69]
	v_add_f64 v[64:65], v[64:65], v[86:87]
	v_mul_f64 v[86:87], v[34:35], s[14:15]
	v_add_f64 v[60:61], v[84:85], v[82:83]
	v_mul_f64 v[82:83], v[34:35], s[34:35]
	v_add_f64 v[32:33], v[36:37], -v[32:33]
	s_mov_b32 s37, 0x3fea55e2
	s_mov_b32 s36, s24
	v_add_f64 v[54:55], v[88:89], v[68:69]
	v_fma_f64 v[84:85], v[22:23], s[10:11], v[50:51]
	v_fma_f64 v[68:69], v[22:23], s[6:7], -v[86:87]
	v_fma_f64 v[36:37], v[22:23], s[10:11], -v[50:51]
	v_mul_f64 v[34:35], v[34:35], s[36:37]
	v_fma_f64 v[50:51], v[22:23], s[26:27], v[82:83]
	v_add_f64 v[20:21], v[30:31], v[20:21]
	v_mul_f64 v[30:31], v[32:33], s[22:23]
	v_add_f64 v[56:57], v[56:57], v[106:107]
	v_fma_f64 v[92:93], v[22:23], s[6:7], v[86:87]
	v_add_f64 v[62:63], v[90:91], v[62:63]
	v_add_f64 v[40:41], v[68:69], v[40:41]
	v_fma_f64 v[68:69], v[22:23], s[26:27], -v[82:83]
	v_add_f64 v[36:37], v[36:37], v[52:53]
	v_fma_f64 v[52:53], v[22:23], s[0:1], v[34:35]
	v_mul_f64 v[82:83], v[32:33], s[30:31]
	v_fma_f64 v[22:23], v[22:23], s[0:1], -v[34:35]
	v_add_f64 v[34:35], v[50:51], v[64:65]
	v_fma_f64 v[50:51], v[20:21], s[20:21], v[30:31]
	v_mul_f64 v[64:65], v[32:33], s[24:25]
	v_fma_f64 v[30:31], v[20:21], s[20:21], -v[30:31]
	v_add_f64 v[56:57], v[98:99], v[56:57]
	v_add_f64 v[58:59], v[92:93], v[58:59]
	;; [unrolled: 1-line block ×4, first 2 shown]
	v_fma_f64 v[62:63], v[20:21], s[10:11], v[82:83]
	v_add_f64 v[24:25], v[50:51], v[24:25]
	v_fma_f64 v[50:51], v[20:21], s[0:1], v[64:65]
	v_mul_f64 v[68:69], v[32:33], s[34:35]
	v_add_f64 v[30:31], v[30:31], v[38:39]
	v_fma_f64 v[38:39], v[20:21], s[0:1], -v[64:65]
	v_add_f64 v[18:19], v[28:29], -v[18:19]
	v_add_f64 v[56:57], v[84:85], v[56:57]
	v_add_f64 v[0:1], v[22:23], v[0:1]
	v_fma_f64 v[22:23], v[20:21], s[10:11], -v[82:83]
	v_add_f64 v[54:55], v[62:63], v[54:55]
	v_mul_f64 v[62:63], v[32:33], s[14:15]
	v_add_f64 v[28:29], v[50:51], v[58:59]
	v_fma_f64 v[50:51], v[20:21], s[26:27], v[68:69]
	v_mul_f64 v[32:33], v[32:33], s[18:19]
	v_add_f64 v[38:39], v[38:39], v[40:41]
	v_fma_f64 v[40:41], v[20:21], s[26:27], -v[68:69]
	v_add_f64 v[14:15], v[14:15], v[16:17]
	v_mul_f64 v[16:17], v[18:19], s[28:29]
	v_add_f64 v[22:23], v[22:23], v[60:61]
	v_fma_f64 v[58:59], v[20:21], s[6:7], v[62:63]
	v_fma_f64 v[60:61], v[20:21], s[6:7], -v[62:63]
	v_add_f64 v[50:51], v[50:51], v[56:57]
	v_fma_f64 v[56:57], v[20:21], s[16:17], v[32:33]
	v_mul_f64 v[62:63], v[18:19], s[14:15]
	v_fma_f64 v[20:21], v[20:21], s[16:17], -v[32:33]
	v_add_f64 v[32:33], v[40:41], v[36:37]
	v_fma_f64 v[36:37], v[14:15], s[26:27], v[16:17]
	v_fma_f64 v[16:17], v[14:15], s[26:27], -v[16:17]
	v_add_f64 v[34:35], v[58:59], v[34:35]
	v_mul_f64 v[58:59], v[18:19], s[22:23]
	v_add_f64 v[52:53], v[56:57], v[52:53]
	v_fma_f64 v[56:57], v[14:15], s[6:7], v[62:63]
	v_add_f64 v[0:1], v[20:21], v[0:1]
	v_fma_f64 v[20:21], v[14:15], s[6:7], -v[62:63]
	v_add_f64 v[24:25], v[36:37], v[24:25]
	v_mul_f64 v[36:37], v[18:19], s[36:37]
	v_add_f64 v[16:17], v[16:17], v[30:31]
	v_mul_f64 v[30:31], v[18:19], s[18:19]
	v_mul_f64 v[18:19], v[18:19], s[30:31]
	v_add_f64 v[40:41], v[60:61], v[66:67]
	v_add_f64 v[54:55], v[56:57], v[54:55]
	;; [unrolled: 1-line block ×3, first 2 shown]
	v_fma_f64 v[22:23], v[14:15], s[20:21], v[58:59]
	v_fma_f64 v[56:57], v[14:15], s[20:21], -v[58:59]
	v_fma_f64 v[58:59], v[14:15], s[0:1], v[36:37]
	v_fma_f64 v[60:61], v[14:15], s[16:17], v[30:31]
	v_fma_f64 v[36:37], v[14:15], s[0:1], -v[36:37]
	v_fma_f64 v[30:31], v[14:15], s[16:17], -v[30:31]
	v_fma_f64 v[62:63], v[14:15], s[10:11], v[18:19]
	v_fma_f64 v[14:15], v[14:15], s[10:11], -v[18:19]
	v_add_f64 v[18:19], v[22:23], v[28:29]
	v_add_f64 v[22:23], v[56:57], v[38:39]
	;; [unrolled: 1-line block ×8, first 2 shown]
	v_mov_b32_e32 v15, 3
	v_mul_u32_u24_e32 v14, 0x3a8, v78
	v_lshlrev_b32_sdwa v15, v15, v79 dst_sel:DWORD dst_unused:UNUSED_PAD src0_sel:DWORD src1_sel:BYTE_0
	v_add3_u32 v14, 0, v14, v15
	ds_write2_b64 v14, v[26:27], v[24:25] offset1:9
	ds_write2_b64 v14, v[54:55], v[18:19] offset0:18 offset1:27
	ds_write2_b64 v14, v[28:29], v[34:35] offset0:36 offset1:45
	;; [unrolled: 1-line block ×5, first 2 shown]
	ds_write_b64 v14, v[16:17] offset:864
.LBB0_21:
	s_or_b64 exec, exec, s[4:5]
	v_lshlrev_b32_e32 v16, 1, v72
	v_mov_b32_e32 v17, 0
	v_lshlrev_b64 v[0:1], 4, v[16:17]
	v_mov_b32_e32 v15, s9
	v_add_co_u32_e64 v14, s[0:1], s8, v0
	v_addc_co_u32_e64 v15, s[0:1], v15, v1, s[0:1]
	s_mov_b32 s0, 0x8c09
	v_mul_u32_u24_sdwa v0, v74, s0 dst_sel:DWORD dst_unused:UNUSED_PAD src0_sel:WORD_0 src1_sel:DWORD
	v_lshrrev_b32_e32 v0, 22, v0
	s_waitcnt lgkmcnt(0)
	s_barrier
	global_load_dwordx4 v[18:21], v[14:15], off offset:1824
	global_load_dwordx4 v[22:25], v[14:15], off offset:1840
	v_mul_lo_u16_e32 v0, 0x75, v0
	v_sub_u16_e32 v16, v74, v0
	v_lshlrev_b32_e32 v0, 5, v16
	global_load_dwordx4 v[26:29], v0, s[8:9] offset:1824
	global_load_dwordx4 v[30:33], v0, s[8:9] offset:1840
	ds_read_b64 v[0:1], v75
	ds_read2_b64 v[34:37], v80 offset0:95 offset1:212
	ds_read2_b64 v[38:41], v81 offset0:73 offset1:190
	;; [unrolled: 1-line block ×3, first 2 shown]
	ds_read_b64 v[54:55], v70
	ds_read_b64 v[56:57], v71
	s_mov_b32 s4, 0xe8584caa
	s_mov_b32 s5, 0x3febb67a
	;; [unrolled: 1-line block ×4, first 2 shown]
	v_lshl_add_u32 v16, v16, 3, 0
	v_add_u32_e32 v79, 0x400, v75
	v_add_u32_e32 v84, 0xc00, v75
	s_waitcnt vmcnt(0) lgkmcnt(0)
	s_barrier
	v_add_u32_e32 v85, 0x1400, v16
	v_mul_f64 v[58:59], v[34:35], v[20:21]
	v_mul_f64 v[62:63], v[40:41], v[24:25]
	;; [unrolled: 1-line block ×12, first 2 shown]
	v_fma_f64 v[6:7], v[6:7], v[18:19], -v[58:59]
	v_fma_f64 v[4:5], v[4:5], v[22:23], -v[62:63]
	v_fma_f64 v[34:35], v[34:35], v[18:19], v[60:61]
	v_fma_f64 v[40:41], v[40:41], v[22:23], v[64:65]
	v_fma_f64 v[8:9], v[8:9], v[18:19], -v[66:67]
	v_fma_f64 v[10:11], v[10:11], v[22:23], -v[68:69]
	v_fma_f64 v[18:19], v[36:37], v[18:19], v[20:21]
	v_fma_f64 v[2:3], v[2:3], v[26:27], -v[77:78]
	v_fma_f64 v[12:13], v[12:13], v[30:31], -v[82:83]
	v_fma_f64 v[20:21], v[50:51], v[22:23], v[24:25]
	v_fma_f64 v[22:23], v[38:39], v[26:27], v[28:29]
	;; [unrolled: 1-line block ×3, first 2 shown]
	v_add_f64 v[26:27], v[46:47], v[6:7]
	v_add_f64 v[28:29], v[6:7], v[4:5]
	v_add_f64 v[30:31], v[34:35], -v[40:41]
	v_add_f64 v[32:33], v[0:1], v[34:35]
	v_add_f64 v[34:35], v[34:35], v[40:41]
	;; [unrolled: 1-line block ×5, first 2 shown]
	v_add_f64 v[6:7], v[6:7], -v[4:5]
	v_add_f64 v[36:37], v[44:45], v[8:9]
	v_add_f64 v[50:51], v[18:19], -v[20:21]
	v_add_f64 v[18:19], v[18:19], v[20:21]
	;; [unrolled: 2-line block ×3, first 2 shown]
	v_add_f64 v[22:23], v[22:23], v[24:25]
	v_add_f64 v[4:5], v[26:27], v[4:5]
	v_fma_f64 v[26:27], v[28:29], -0.5, v[46:47]
	v_add_f64 v[28:29], v[32:33], v[40:41]
	v_fma_f64 v[0:1], v[34:35], -0.5, v[0:1]
	v_fma_f64 v[32:33], v[38:39], -0.5, v[44:45]
	v_add_f64 v[58:59], v[42:43], v[2:3]
	v_add_f64 v[34:35], v[52:53], v[20:21]
	v_fma_f64 v[20:21], v[60:61], -0.5, v[42:43]
	v_add_f64 v[8:9], v[8:9], -v[10:11]
	v_add_f64 v[2:3], v[2:3], -v[12:13]
	v_add_f64 v[10:11], v[36:37], v[10:11]
	v_fma_f64 v[18:19], v[18:19], -0.5, v[54:55]
	v_fma_f64 v[22:23], v[22:23], -0.5, v[56:57]
	v_fma_f64 v[36:37], v[30:31], s[4:5], v[26:27]
	v_fma_f64 v[26:27], v[30:31], s[6:7], v[26:27]
	;; [unrolled: 1-line block ×6, first 2 shown]
	v_add_f64 v[12:13], v[58:59], v[12:13]
	v_fma_f64 v[40:41], v[62:63], s[4:5], v[20:21]
	v_fma_f64 v[20:21], v[62:63], s[6:7], v[20:21]
	;; [unrolled: 1-line block ×6, first 2 shown]
	ds_write2_b64 v75, v[4:5], v[36:37] offset1:117
	ds_write2_b64 v79, v[26:27], v[10:11] offset0:106 offset1:223
	ds_write2_b64 v84, v[0:1], v[6:7] offset0:84 offset1:201
	ds_write2_b64 v85, v[12:13], v[40:41] offset0:62 offset1:179
	ds_write_b64 v16, v[20:21] offset:7488
	s_waitcnt lgkmcnt(0)
	s_barrier
	ds_read2_b64 v[8:11], v80 offset0:95 offset1:212
	ds_read2_b64 v[0:3], v81 offset0:73 offset1:190
	;; [unrolled: 1-line block ×3, first 2 shown]
	ds_read_b64 v[20:21], v75
	ds_read_b64 v[18:19], v70
	;; [unrolled: 1-line block ×3, first 2 shown]
	v_add_f64 v[24:25], v[64:65], v[24:25]
	s_waitcnt lgkmcnt(0)
	s_barrier
	ds_write2_b64 v75, v[28:29], v[30:31] offset1:117
	ds_write2_b64 v79, v[38:39], v[34:35] offset0:106 offset1:223
	ds_write2_b64 v84, v[32:33], v[42:43] offset0:84 offset1:201
	;; [unrolled: 1-line block ×3, first 2 shown]
	ds_write_b64 v16, v[22:23] offset:7488
	s_waitcnt lgkmcnt(0)
	s_barrier
	s_and_saveexec_b64 s[0:1], vcc
	s_cbranch_execz .LBB0_23
; %bb.22:
	v_lshlrev_b32_e32 v16, 1, v74
	v_lshlrev_b64 v[22:23], 4, v[16:17]
	v_mov_b32_e32 v24, s9
	v_add_co_u32_e32 v16, vcc, s8, v22
	v_addc_co_u32_e32 v38, vcc, v24, v23, vcc
	v_add_co_u32_e32 v42, vcc, 0x15c0, v16
	v_addc_co_u32_e32 v43, vcc, 0, v38, vcc
	v_add_co_u32_e32 v44, vcc, 0x1000, v16
	v_lshlrev_b32_e32 v16, 1, v73
	v_lshlrev_b64 v[16:17], 4, v[16:17]
	s_movk_i32 s9, 0x15c0
	v_add_co_u32_e64 v30, s[0:1], s8, v16
	v_addc_co_u32_e64 v31, s[0:1], v24, v17, s[0:1]
	v_add_co_u32_e64 v34, s[0:1], s9, v30
	v_addc_co_u32_e64 v35, s[0:1], 0, v31, s[0:1]
	v_add_co_u32_e64 v26, s[0:1], s9, v14
	s_movk_i32 s10, 0x1000
	v_addc_co_u32_e64 v27, s[0:1], 0, v15, s[0:1]
	v_add_co_u32_e64 v28, s[0:1], s10, v14
	v_addc_co_u32_e64 v29, s[0:1], 0, v15, s[0:1]
	v_add_co_u32_e64 v36, s[0:1], s10, v30
	v_addc_co_u32_e64 v37, s[0:1], 0, v31, s[0:1]
	global_load_dwordx4 v[14:17], v[28:29], off offset:1472
	global_load_dwordx4 v[22:25], v[26:27], off offset:16
	s_nop 0
	global_load_dwordx4 v[26:29], v[36:37], off offset:1472
	global_load_dwordx4 v[30:33], v[34:35], off offset:16
	v_addc_co_u32_e32 v45, vcc, 0, v38, vcc
	global_load_dwordx4 v[34:37], v[44:45], off offset:1472
	global_load_dwordx4 v[38:41], v[42:43], off offset:16
	v_add_u32_e32 v50, 0x1000, v75
	v_add_u32_e32 v54, 0x1800, v75
	;; [unrolled: 1-line block ×3, first 2 shown]
	ds_read_b64 v[46:47], v71
	ds_read_b64 v[58:59], v70
	;; [unrolled: 1-line block ×3, first 2 shown]
	ds_read2_b64 v[42:45], v42 offset0:95 offset1:212
	ds_read2_b64 v[50:53], v50 offset0:73 offset1:190
	;; [unrolled: 1-line block ×3, first 2 shown]
	v_mad_u64_u32 v[62:63], s[0:1], s2, v72, 0
	s_waitcnt vmcnt(5) lgkmcnt(2)
	v_mul_f64 v[64:65], v[42:43], v[16:17]
	s_waitcnt vmcnt(4) lgkmcnt(1)
	v_mul_f64 v[66:67], v[52:53], v[24:25]
	v_mul_f64 v[16:17], v[8:9], v[16:17]
	;; [unrolled: 1-line block ×3, first 2 shown]
	s_waitcnt vmcnt(3)
	v_mul_f64 v[68:69], v[44:45], v[28:29]
	s_waitcnt vmcnt(2) lgkmcnt(0)
	v_mul_f64 v[70:71], v[54:55], v[32:33]
	v_mul_f64 v[28:29], v[10:11], v[28:29]
	;; [unrolled: 1-line block ×3, first 2 shown]
	s_waitcnt vmcnt(1)
	v_mul_f64 v[73:74], v[50:51], v[36:37]
	s_waitcnt vmcnt(0)
	v_mul_f64 v[75:76], v[56:57], v[40:41]
	v_mul_f64 v[36:37], v[0:1], v[36:37]
	v_mul_f64 v[40:41], v[6:7], v[40:41]
	v_fma_f64 v[8:9], v[8:9], v[14:15], -v[64:65]
	v_fma_f64 v[64:65], v[2:3], v[22:23], -v[66:67]
	v_fma_f64 v[2:3], v[14:15], v[42:43], v[16:17]
	v_fma_f64 v[42:43], v[22:23], v[52:53], v[24:25]
	;; [unrolled: 1-line block ×4, first 2 shown]
	v_fma_f64 v[10:11], v[10:11], v[26:27], -v[68:69]
	v_fma_f64 v[4:5], v[4:5], v[30:31], -v[70:71]
	;; [unrolled: 1-line block ×3, first 2 shown]
	v_fma_f64 v[6:7], v[34:35], v[50:51], v[36:37]
	v_fma_f64 v[24:25], v[38:39], v[56:57], v[40:41]
	v_fma_f64 v[0:1], v[0:1], v[34:35], -v[73:74]
	v_add_f64 v[28:29], v[2:3], v[42:43]
	v_add_f64 v[32:33], v[2:3], v[60:61]
	;; [unrolled: 1-line block ×3, first 2 shown]
	v_add_f64 v[36:37], v[2:3], -v[42:43]
	v_add_f64 v[2:3], v[14:15], v[16:17]
	v_add_f64 v[34:35], v[14:15], v[58:59]
	;; [unrolled: 1-line block ×3, first 2 shown]
	v_add_f64 v[44:45], v[14:15], -v[16:17]
	v_add_f64 v[14:15], v[6:7], v[24:25]
	v_add_f64 v[26:27], v[8:9], -v[64:65]
	v_add_f64 v[38:39], v[20:21], v[8:9]
	;; [unrolled: 2-line block ×3, first 2 shown]
	v_add_f64 v[66:67], v[12:13], v[0:1]
	v_fma_f64 v[28:29], v[28:29], -0.5, v[60:61]
	v_fma_f64 v[60:61], v[30:31], -0.5, v[20:21]
	;; [unrolled: 1-line block ×3, first 2 shown]
	v_add_f64 v[54:55], v[0:1], v[22:23]
	v_add_f64 v[50:51], v[0:1], -v[22:23]
	v_add_f64 v[2:3], v[16:17], v[34:35]
	v_fma_f64 v[30:31], v[40:41], -0.5, v[18:19]
	v_fma_f64 v[34:35], v[14:15], -0.5, v[46:47]
	v_add_f64 v[0:1], v[10:11], v[4:5]
	v_add_f64 v[4:5], v[66:67], v[22:23]
	v_fma_f64 v[18:19], v[8:9], s[4:5], v[20:21]
	v_fma_f64 v[22:23], v[8:9], s[6:7], v[20:21]
	v_mov_b32_e32 v8, v63
	v_add_f64 v[52:53], v[6:7], v[46:47]
	v_add_f64 v[56:57], v[6:7], -v[24:25]
	v_fma_f64 v[12:13], v[54:55], -0.5, v[12:13]
	v_mad_u64_u32 v[40:41], s[0:1], s3, v72, v[8:9]
	v_fma_f64 v[10:11], v[26:27], s[4:5], v[28:29]
	v_fma_f64 v[14:15], v[26:27], s[6:7], v[28:29]
	v_mov_b32_e32 v63, v40
	v_add_u32_e32 v40, 0x15f, v72
	v_fma_f64 v[16:17], v[44:45], s[6:7], v[30:31]
	v_fma_f64 v[20:21], v[44:45], s[4:5], v[30:31]
	;; [unrolled: 1-line block ×4, first 2 shown]
	v_add_f64 v[34:35], v[32:33], v[42:43]
	v_add_f64 v[32:33], v[38:39], v[64:65]
	v_mad_u64_u32 v[38:39], s[0:1], s2, v40, 0
	v_add_f64 v[6:7], v[24:25], v[52:53]
	v_fma_f64 v[24:25], v[56:57], s[6:7], v[12:13]
	v_fma_f64 v[28:29], v[56:57], s[4:5], v[12:13]
	v_fma_f64 v[8:9], v[36:37], s[6:7], v[60:61]
	v_fma_f64 v[12:13], v[36:37], s[4:5], v[60:61]
	v_mov_b32_e32 v36, s13
	v_add_co_u32_e32 v42, vcc, s12, v48
	v_addc_co_u32_e32 v43, vcc, v36, v49, vcc
	v_lshlrev_b64 v[36:37], 4, v[62:63]
	v_mad_u64_u32 v[39:40], s[0:1], s3, v40, v[39:40]
	v_add_co_u32_e32 v36, vcc, v42, v36
	v_addc_co_u32_e32 v37, vcc, v43, v37, vcc
	v_add_u32_e32 v44, 0x2be, v72
	v_mad_u64_u32 v[40:41], s[0:1], s2, v44, 0
	global_store_dwordx4 v[36:37], v[32:35], off
	s_movk_i32 s4, 0x2be
	v_lshlrev_b64 v[32:33], 4, v[38:39]
	v_mov_b32_e32 v34, v41
	v_add_co_u32_e32 v32, vcc, v42, v32
	v_addc_co_u32_e32 v33, vcc, v43, v33, vcc
	global_store_dwordx4 v[32:33], v[12:15], off
	v_add_u32_e32 v32, 0x75, v72
	v_mad_u64_u32 v[34:35], s[0:1], s3, v44, v[34:35]
	v_mad_u64_u32 v[14:15], s[0:1], s2, v32, 0
	v_mov_b32_e32 v41, v34
	v_lshlrev_b64 v[12:13], 4, v[40:41]
	v_mad_u64_u32 v[32:33], s[0:1], s3, v32, v[15:16]
	v_add_u32_e32 v35, 0x1d4, v72
	v_mad_u64_u32 v[33:34], s[0:1], s2, v35, 0
	v_add_co_u32_e32 v12, vcc, v42, v12
	v_addc_co_u32_e32 v13, vcc, v43, v13, vcc
	v_mov_b32_e32 v15, v32
	global_store_dwordx4 v[12:13], v[8:11], off
	s_nop 0
	v_lshlrev_b64 v[8:9], 4, v[14:15]
	v_mov_b32_e32 v10, v34
	v_mad_u64_u32 v[10:11], s[0:1], s3, v35, v[10:11]
	v_add_co_u32_e32 v8, vcc, v42, v8
	v_addc_co_u32_e32 v9, vcc, v43, v9, vcc
	global_store_dwordx4 v[8:9], v[0:3], off
	v_add_u32_e32 v8, 0x333, v72
	v_mad_u64_u32 v[2:3], s[0:1], s2, v8, 0
	v_mov_b32_e32 v34, v10
	v_add_u32_e32 v10, 0xea, v72
	s_mov_b32 s0, 0x756cac21
	v_mul_hi_u32 v11, v10, s0
	v_mad_u64_u32 v[8:9], s[0:1], s3, v8, v[3:4]
	v_lshlrev_b64 v[0:1], 4, v[33:34]
	v_sub_u32_e32 v3, v10, v11
	v_lshrrev_b32_e32 v3, 1, v3
	v_add_u32_e32 v3, v3, v11
	v_lshrrev_b32_e32 v3, 8, v3
	v_mad_u32_u24 v11, v3, s4, v10
	v_mad_u64_u32 v[9:10], s[0:1], s2, v11, 0
	v_add_co_u32_e32 v0, vcc, v42, v0
	v_addc_co_u32_e32 v1, vcc, v43, v1, vcc
	v_mov_b32_e32 v3, v8
	global_store_dwordx4 v[0:1], v[20:23], off
	v_lshlrev_b64 v[0:1], 4, v[2:3]
	v_mov_b32_e32 v2, v10
	v_mad_u64_u32 v[2:3], s[0:1], s3, v11, v[2:3]
	v_add_u32_e32 v8, 0x15f, v11
	v_add_co_u32_e32 v0, vcc, v42, v0
	v_mov_b32_e32 v10, v2
	v_mad_u64_u32 v[2:3], s[0:1], s2, v8, 0
	v_addc_co_u32_e32 v1, vcc, v43, v1, vcc
	global_store_dwordx4 v[0:1], v[16:19], off
	v_lshlrev_b64 v[0:1], 4, v[9:10]
	v_mad_u64_u32 v[8:9], s[0:1], s3, v8, v[3:4]
	v_add_u32_e32 v11, 0x2be, v11
	v_mad_u64_u32 v[9:10], s[0:1], s2, v11, 0
	v_add_co_u32_e32 v0, vcc, v42, v0
	v_addc_co_u32_e32 v1, vcc, v43, v1, vcc
	v_mov_b32_e32 v3, v8
	global_store_dwordx4 v[0:1], v[4:7], off
	v_lshlrev_b64 v[0:1], 4, v[2:3]
	v_mov_b32_e32 v2, v10
	v_mad_u64_u32 v[2:3], s[0:1], s3, v11, v[2:3]
	v_add_co_u32_e32 v0, vcc, v42, v0
	v_addc_co_u32_e32 v1, vcc, v43, v1, vcc
	v_mov_b32_e32 v10, v2
	global_store_dwordx4 v[0:1], v[28:31], off
	v_lshlrev_b64 v[0:1], 4, v[9:10]
	v_add_co_u32_e32 v0, vcc, v42, v0
	v_addc_co_u32_e32 v1, vcc, v43, v1, vcc
	global_store_dwordx4 v[0:1], v[24:27], off
.LBB0_23:
	s_endpgm
	.section	.rodata,"a",@progbits
	.p2align	6, 0x0
	.amdhsa_kernel fft_rtc_fwd_len1053_factors_3_3_13_3_3_wgs_117_tpt_117_halfLds_dp_ip_CI_sbrr_dirReg
		.amdhsa_group_segment_fixed_size 0
		.amdhsa_private_segment_fixed_size 0
		.amdhsa_kernarg_size 88
		.amdhsa_user_sgpr_count 6
		.amdhsa_user_sgpr_private_segment_buffer 1
		.amdhsa_user_sgpr_dispatch_ptr 0
		.amdhsa_user_sgpr_queue_ptr 0
		.amdhsa_user_sgpr_kernarg_segment_ptr 1
		.amdhsa_user_sgpr_dispatch_id 0
		.amdhsa_user_sgpr_flat_scratch_init 0
		.amdhsa_user_sgpr_private_segment_size 0
		.amdhsa_uses_dynamic_stack 0
		.amdhsa_system_sgpr_private_segment_wavefront_offset 0
		.amdhsa_system_sgpr_workgroup_id_x 1
		.amdhsa_system_sgpr_workgroup_id_y 0
		.amdhsa_system_sgpr_workgroup_id_z 0
		.amdhsa_system_sgpr_workgroup_info 0
		.amdhsa_system_vgpr_workitem_id 0
		.amdhsa_next_free_vgpr 140
		.amdhsa_next_free_sgpr 44
		.amdhsa_reserve_vcc 1
		.amdhsa_reserve_flat_scratch 0
		.amdhsa_float_round_mode_32 0
		.amdhsa_float_round_mode_16_64 0
		.amdhsa_float_denorm_mode_32 3
		.amdhsa_float_denorm_mode_16_64 3
		.amdhsa_dx10_clamp 1
		.amdhsa_ieee_mode 1
		.amdhsa_fp16_overflow 0
		.amdhsa_exception_fp_ieee_invalid_op 0
		.amdhsa_exception_fp_denorm_src 0
		.amdhsa_exception_fp_ieee_div_zero 0
		.amdhsa_exception_fp_ieee_overflow 0
		.amdhsa_exception_fp_ieee_underflow 0
		.amdhsa_exception_fp_ieee_inexact 0
		.amdhsa_exception_int_div_zero 0
	.end_amdhsa_kernel
	.text
.Lfunc_end0:
	.size	fft_rtc_fwd_len1053_factors_3_3_13_3_3_wgs_117_tpt_117_halfLds_dp_ip_CI_sbrr_dirReg, .Lfunc_end0-fft_rtc_fwd_len1053_factors_3_3_13_3_3_wgs_117_tpt_117_halfLds_dp_ip_CI_sbrr_dirReg
                                        ; -- End function
	.section	.AMDGPU.csdata,"",@progbits
; Kernel info:
; codeLenInByte = 10384
; NumSgprs: 48
; NumVgprs: 140
; ScratchSize: 0
; MemoryBound: 1
; FloatMode: 240
; IeeeMode: 1
; LDSByteSize: 0 bytes/workgroup (compile time only)
; SGPRBlocks: 5
; VGPRBlocks: 34
; NumSGPRsForWavesPerEU: 48
; NumVGPRsForWavesPerEU: 140
; Occupancy: 1
; WaveLimiterHint : 1
; COMPUTE_PGM_RSRC2:SCRATCH_EN: 0
; COMPUTE_PGM_RSRC2:USER_SGPR: 6
; COMPUTE_PGM_RSRC2:TRAP_HANDLER: 0
; COMPUTE_PGM_RSRC2:TGID_X_EN: 1
; COMPUTE_PGM_RSRC2:TGID_Y_EN: 0
; COMPUTE_PGM_RSRC2:TGID_Z_EN: 0
; COMPUTE_PGM_RSRC2:TIDIG_COMP_CNT: 0
	.type	__hip_cuid_ea9be8a5d316c06a,@object ; @__hip_cuid_ea9be8a5d316c06a
	.section	.bss,"aw",@nobits
	.globl	__hip_cuid_ea9be8a5d316c06a
__hip_cuid_ea9be8a5d316c06a:
	.byte	0                               ; 0x0
	.size	__hip_cuid_ea9be8a5d316c06a, 1

	.ident	"AMD clang version 19.0.0git (https://github.com/RadeonOpenCompute/llvm-project roc-6.4.0 25133 c7fe45cf4b819c5991fe208aaa96edf142730f1d)"
	.section	".note.GNU-stack","",@progbits
	.addrsig
	.addrsig_sym __hip_cuid_ea9be8a5d316c06a
	.amdgpu_metadata
---
amdhsa.kernels:
  - .args:
      - .actual_access:  read_only
        .address_space:  global
        .offset:         0
        .size:           8
        .value_kind:     global_buffer
      - .offset:         8
        .size:           8
        .value_kind:     by_value
      - .actual_access:  read_only
        .address_space:  global
        .offset:         16
        .size:           8
        .value_kind:     global_buffer
      - .actual_access:  read_only
        .address_space:  global
        .offset:         24
        .size:           8
        .value_kind:     global_buffer
      - .offset:         32
        .size:           8
        .value_kind:     by_value
      - .actual_access:  read_only
        .address_space:  global
        .offset:         40
        .size:           8
        .value_kind:     global_buffer
      - .actual_access:  read_only
        .address_space:  global
        .offset:         48
        .size:           8
        .value_kind:     global_buffer
      - .offset:         56
        .size:           4
        .value_kind:     by_value
      - .actual_access:  read_only
        .address_space:  global
        .offset:         64
        .size:           8
        .value_kind:     global_buffer
      - .actual_access:  read_only
        .address_space:  global
        .offset:         72
        .size:           8
        .value_kind:     global_buffer
      - .address_space:  global
        .offset:         80
        .size:           8
        .value_kind:     global_buffer
    .group_segment_fixed_size: 0
    .kernarg_segment_align: 8
    .kernarg_segment_size: 88
    .language:       OpenCL C
    .language_version:
      - 2
      - 0
    .max_flat_workgroup_size: 117
    .name:           fft_rtc_fwd_len1053_factors_3_3_13_3_3_wgs_117_tpt_117_halfLds_dp_ip_CI_sbrr_dirReg
    .private_segment_fixed_size: 0
    .sgpr_count:     48
    .sgpr_spill_count: 0
    .symbol:         fft_rtc_fwd_len1053_factors_3_3_13_3_3_wgs_117_tpt_117_halfLds_dp_ip_CI_sbrr_dirReg.kd
    .uniform_work_group_size: 1
    .uses_dynamic_stack: false
    .vgpr_count:     140
    .vgpr_spill_count: 0
    .wavefront_size: 64
amdhsa.target:   amdgcn-amd-amdhsa--gfx906
amdhsa.version:
  - 1
  - 2
...

	.end_amdgpu_metadata
